;; amdgpu-corpus repo=ROCm/rocFFT kind=compiled arch=gfx1030 opt=O3
	.text
	.amdgcn_target "amdgcn-amd-amdhsa--gfx1030"
	.amdhsa_code_object_version 6
	.protected	fft_rtc_fwd_len594_factors_11_3_6_3_wgs_99_tpt_99_dp_op_CI_CI_unitstride_sbrr_R2C_dirReg ; -- Begin function fft_rtc_fwd_len594_factors_11_3_6_3_wgs_99_tpt_99_dp_op_CI_CI_unitstride_sbrr_R2C_dirReg
	.globl	fft_rtc_fwd_len594_factors_11_3_6_3_wgs_99_tpt_99_dp_op_CI_CI_unitstride_sbrr_R2C_dirReg
	.p2align	8
	.type	fft_rtc_fwd_len594_factors_11_3_6_3_wgs_99_tpt_99_dp_op_CI_CI_unitstride_sbrr_R2C_dirReg,@function
fft_rtc_fwd_len594_factors_11_3_6_3_wgs_99_tpt_99_dp_op_CI_CI_unitstride_sbrr_R2C_dirReg: ; @fft_rtc_fwd_len594_factors_11_3_6_3_wgs_99_tpt_99_dp_op_CI_CI_unitstride_sbrr_R2C_dirReg
; %bb.0:
	s_clause 0x2
	s_load_dwordx4 s[12:15], s[4:5], 0x0
	s_load_dwordx4 s[8:11], s[4:5], 0x58
	;; [unrolled: 1-line block ×3, first 2 shown]
	v_mul_u32_u24_e32 v1, 0x296, v0
	v_mov_b32_e32 v3, 0
	v_add_nc_u32_sdwa v5, s6, v1 dst_sel:DWORD dst_unused:UNUSED_PAD src0_sel:DWORD src1_sel:WORD_1
	v_mov_b32_e32 v1, 0
	v_mov_b32_e32 v6, v3
	v_mov_b32_e32 v2, 0
	s_waitcnt lgkmcnt(0)
	v_cmp_lt_u64_e64 s0, s[14:15], 2
	s_and_b32 vcc_lo, exec_lo, s0
	s_cbranch_vccnz .LBB0_8
; %bb.1:
	s_load_dwordx2 s[0:1], s[4:5], 0x10
	v_mov_b32_e32 v1, 0
	v_mov_b32_e32 v2, 0
	s_add_u32 s2, s18, 8
	s_addc_u32 s3, s19, 0
	s_add_u32 s6, s16, 8
	s_addc_u32 s7, s17, 0
	v_mov_b32_e32 v45, v2
	v_mov_b32_e32 v44, v1
	s_mov_b64 s[22:23], 1
	s_waitcnt lgkmcnt(0)
	s_add_u32 s20, s0, 8
	s_addc_u32 s21, s1, 0
.LBB0_2:                                ; =>This Inner Loop Header: Depth=1
	s_load_dwordx2 s[24:25], s[20:21], 0x0
                                        ; implicit-def: $vgpr46_vgpr47
	s_mov_b32 s0, exec_lo
	s_waitcnt lgkmcnt(0)
	v_or_b32_e32 v4, s25, v6
	v_cmpx_ne_u64_e32 0, v[3:4]
	s_xor_b32 s1, exec_lo, s0
	s_cbranch_execz .LBB0_4
; %bb.3:                                ;   in Loop: Header=BB0_2 Depth=1
	v_cvt_f32_u32_e32 v4, s24
	v_cvt_f32_u32_e32 v7, s25
	s_sub_u32 s0, 0, s24
	s_subb_u32 s26, 0, s25
	v_fmac_f32_e32 v4, 0x4f800000, v7
	v_rcp_f32_e32 v4, v4
	v_mul_f32_e32 v4, 0x5f7ffffc, v4
	v_mul_f32_e32 v7, 0x2f800000, v4
	v_trunc_f32_e32 v7, v7
	v_fmac_f32_e32 v4, 0xcf800000, v7
	v_cvt_u32_f32_e32 v7, v7
	v_cvt_u32_f32_e32 v4, v4
	v_mul_lo_u32 v8, s0, v7
	v_mul_hi_u32 v9, s0, v4
	v_mul_lo_u32 v10, s26, v4
	v_add_nc_u32_e32 v8, v9, v8
	v_mul_lo_u32 v9, s0, v4
	v_add_nc_u32_e32 v8, v8, v10
	v_mul_hi_u32 v10, v4, v9
	v_mul_lo_u32 v11, v4, v8
	v_mul_hi_u32 v12, v4, v8
	v_mul_hi_u32 v13, v7, v9
	v_mul_lo_u32 v9, v7, v9
	v_mul_hi_u32 v14, v7, v8
	v_mul_lo_u32 v8, v7, v8
	v_add_co_u32 v10, vcc_lo, v10, v11
	v_add_co_ci_u32_e32 v11, vcc_lo, 0, v12, vcc_lo
	v_add_co_u32 v9, vcc_lo, v10, v9
	v_add_co_ci_u32_e32 v9, vcc_lo, v11, v13, vcc_lo
	v_add_co_ci_u32_e32 v10, vcc_lo, 0, v14, vcc_lo
	v_add_co_u32 v8, vcc_lo, v9, v8
	v_add_co_ci_u32_e32 v9, vcc_lo, 0, v10, vcc_lo
	v_add_co_u32 v4, vcc_lo, v4, v8
	v_add_co_ci_u32_e32 v7, vcc_lo, v7, v9, vcc_lo
	v_mul_hi_u32 v8, s0, v4
	v_mul_lo_u32 v10, s26, v4
	v_mul_lo_u32 v9, s0, v7
	v_add_nc_u32_e32 v8, v8, v9
	v_mul_lo_u32 v9, s0, v4
	v_add_nc_u32_e32 v8, v8, v10
	v_mul_hi_u32 v10, v4, v9
	v_mul_lo_u32 v11, v4, v8
	v_mul_hi_u32 v12, v4, v8
	v_mul_hi_u32 v13, v7, v9
	v_mul_lo_u32 v9, v7, v9
	v_mul_hi_u32 v14, v7, v8
	v_mul_lo_u32 v8, v7, v8
	v_add_co_u32 v10, vcc_lo, v10, v11
	v_add_co_ci_u32_e32 v11, vcc_lo, 0, v12, vcc_lo
	v_add_co_u32 v9, vcc_lo, v10, v9
	v_add_co_ci_u32_e32 v9, vcc_lo, v11, v13, vcc_lo
	v_add_co_ci_u32_e32 v10, vcc_lo, 0, v14, vcc_lo
	v_add_co_u32 v8, vcc_lo, v9, v8
	v_add_co_ci_u32_e32 v9, vcc_lo, 0, v10, vcc_lo
	v_add_co_u32 v4, vcc_lo, v4, v8
	v_add_co_ci_u32_e32 v11, vcc_lo, v7, v9, vcc_lo
	v_mul_hi_u32 v13, v5, v4
	v_mad_u64_u32 v[9:10], null, v6, v4, 0
	v_mad_u64_u32 v[7:8], null, v5, v11, 0
	;; [unrolled: 1-line block ×3, first 2 shown]
	v_add_co_u32 v4, vcc_lo, v13, v7
	v_add_co_ci_u32_e32 v7, vcc_lo, 0, v8, vcc_lo
	v_add_co_u32 v4, vcc_lo, v4, v9
	v_add_co_ci_u32_e32 v4, vcc_lo, v7, v10, vcc_lo
	v_add_co_ci_u32_e32 v7, vcc_lo, 0, v12, vcc_lo
	v_add_co_u32 v4, vcc_lo, v4, v11
	v_add_co_ci_u32_e32 v9, vcc_lo, 0, v7, vcc_lo
	v_mul_lo_u32 v10, s25, v4
	v_mad_u64_u32 v[7:8], null, s24, v4, 0
	v_mul_lo_u32 v11, s24, v9
	v_sub_co_u32 v7, vcc_lo, v5, v7
	v_add3_u32 v8, v8, v11, v10
	v_sub_nc_u32_e32 v10, v6, v8
	v_subrev_co_ci_u32_e64 v10, s0, s25, v10, vcc_lo
	v_add_co_u32 v11, s0, v4, 2
	v_add_co_ci_u32_e64 v12, s0, 0, v9, s0
	v_sub_co_u32 v13, s0, v7, s24
	v_sub_co_ci_u32_e32 v8, vcc_lo, v6, v8, vcc_lo
	v_subrev_co_ci_u32_e64 v10, s0, 0, v10, s0
	v_cmp_le_u32_e32 vcc_lo, s24, v13
	v_cmp_eq_u32_e64 s0, s25, v8
	v_cndmask_b32_e64 v13, 0, -1, vcc_lo
	v_cmp_le_u32_e32 vcc_lo, s25, v10
	v_cndmask_b32_e64 v14, 0, -1, vcc_lo
	v_cmp_le_u32_e32 vcc_lo, s24, v7
	;; [unrolled: 2-line block ×3, first 2 shown]
	v_cndmask_b32_e64 v15, 0, -1, vcc_lo
	v_cmp_eq_u32_e32 vcc_lo, s25, v10
	v_cndmask_b32_e64 v7, v15, v7, s0
	v_cndmask_b32_e32 v10, v14, v13, vcc_lo
	v_add_co_u32 v13, vcc_lo, v4, 1
	v_add_co_ci_u32_e32 v14, vcc_lo, 0, v9, vcc_lo
	v_cmp_ne_u32_e32 vcc_lo, 0, v10
	v_cndmask_b32_e32 v8, v14, v12, vcc_lo
	v_cndmask_b32_e32 v10, v13, v11, vcc_lo
	v_cmp_ne_u32_e32 vcc_lo, 0, v7
	v_cndmask_b32_e32 v47, v9, v8, vcc_lo
	v_cndmask_b32_e32 v46, v4, v10, vcc_lo
.LBB0_4:                                ;   in Loop: Header=BB0_2 Depth=1
	s_andn2_saveexec_b32 s0, s1
	s_cbranch_execz .LBB0_6
; %bb.5:                                ;   in Loop: Header=BB0_2 Depth=1
	v_cvt_f32_u32_e32 v4, s24
	s_sub_i32 s1, 0, s24
	v_mov_b32_e32 v47, v3
	v_rcp_iflag_f32_e32 v4, v4
	v_mul_f32_e32 v4, 0x4f7ffffe, v4
	v_cvt_u32_f32_e32 v4, v4
	v_mul_lo_u32 v7, s1, v4
	v_mul_hi_u32 v7, v4, v7
	v_add_nc_u32_e32 v4, v4, v7
	v_mul_hi_u32 v4, v5, v4
	v_mul_lo_u32 v7, v4, s24
	v_add_nc_u32_e32 v8, 1, v4
	v_sub_nc_u32_e32 v7, v5, v7
	v_subrev_nc_u32_e32 v9, s24, v7
	v_cmp_le_u32_e32 vcc_lo, s24, v7
	v_cndmask_b32_e32 v7, v7, v9, vcc_lo
	v_cndmask_b32_e32 v4, v4, v8, vcc_lo
	v_cmp_le_u32_e32 vcc_lo, s24, v7
	v_add_nc_u32_e32 v8, 1, v4
	v_cndmask_b32_e32 v46, v4, v8, vcc_lo
.LBB0_6:                                ;   in Loop: Header=BB0_2 Depth=1
	s_or_b32 exec_lo, exec_lo, s0
	v_mul_lo_u32 v4, v47, s24
	v_mul_lo_u32 v9, v46, s25
	s_load_dwordx2 s[0:1], s[6:7], 0x0
	v_mad_u64_u32 v[7:8], null, v46, s24, 0
	s_load_dwordx2 s[24:25], s[2:3], 0x0
	s_add_u32 s22, s22, 1
	s_addc_u32 s23, s23, 0
	s_add_u32 s2, s2, 8
	s_addc_u32 s3, s3, 0
	s_add_u32 s6, s6, 8
	v_add3_u32 v4, v8, v9, v4
	v_sub_co_u32 v5, vcc_lo, v5, v7
	s_addc_u32 s7, s7, 0
	s_add_u32 s20, s20, 8
	v_sub_co_ci_u32_e32 v4, vcc_lo, v6, v4, vcc_lo
	s_addc_u32 s21, s21, 0
	s_waitcnt lgkmcnt(0)
	v_mul_lo_u32 v6, s0, v4
	v_mul_lo_u32 v7, s1, v5
	v_mad_u64_u32 v[1:2], null, s0, v5, v[1:2]
	v_mul_lo_u32 v4, s24, v4
	v_mul_lo_u32 v8, s25, v5
	v_mad_u64_u32 v[44:45], null, s24, v5, v[44:45]
	v_cmp_ge_u64_e64 s0, s[22:23], s[14:15]
	v_add3_u32 v2, v7, v2, v6
	v_add3_u32 v45, v8, v45, v4
	s_and_b32 vcc_lo, exec_lo, s0
	s_cbranch_vccnz .LBB0_9
; %bb.7:                                ;   in Loop: Header=BB0_2 Depth=1
	v_mov_b32_e32 v5, v46
	v_mov_b32_e32 v6, v47
	s_branch .LBB0_2
.LBB0_8:
	v_mov_b32_e32 v45, v2
	v_mov_b32_e32 v47, v6
	;; [unrolled: 1-line block ×4, first 2 shown]
.LBB0_9:
	s_load_dwordx2 s[0:1], s[4:5], 0x28
	v_mul_hi_u32 v3, 0x295fad5, v0
	s_lshl_b64 s[4:5], s[14:15], 3
                                        ; implicit-def: $vgpr48
	s_add_u32 s2, s18, s4
	s_addc_u32 s3, s19, s5
	s_waitcnt lgkmcnt(0)
	v_cmp_gt_u64_e32 vcc_lo, s[0:1], v[46:47]
	v_cmp_le_u64_e64 s0, s[0:1], v[46:47]
	s_and_saveexec_b32 s1, s0
	s_xor_b32 s0, exec_lo, s1
; %bb.10:
	v_mul_u32_u24_e32 v1, 0x63, v3
                                        ; implicit-def: $vgpr3
	v_sub_nc_u32_e32 v48, v0, v1
                                        ; implicit-def: $vgpr0
                                        ; implicit-def: $vgpr1_vgpr2
; %bb.11:
	s_andn2_saveexec_b32 s1, s0
	s_cbranch_execz .LBB0_13
; %bb.12:
	s_add_u32 s4, s16, s4
	s_addc_u32 s5, s17, s5
	v_lshlrev_b64 v[1:2], 4, v[1:2]
	s_load_dwordx2 s[4:5], s[4:5], 0x0
	s_waitcnt lgkmcnt(0)
	v_mul_lo_u32 v6, s5, v46
	v_mul_lo_u32 v7, s4, v47
	v_mad_u64_u32 v[4:5], null, s4, v46, 0
	v_add3_u32 v5, v5, v7, v6
	v_mul_u32_u24_e32 v6, 0x63, v3
	v_lshlrev_b64 v[3:4], 4, v[4:5]
	v_sub_nc_u32_e32 v48, v0, v6
	v_lshlrev_b32_e32 v24, 4, v48
	v_add_co_u32 v0, s0, s8, v3
	v_add_co_ci_u32_e64 v3, s0, s9, v4, s0
	v_add_co_u32 v0, s0, v0, v1
	v_add_co_ci_u32_e64 v1, s0, v3, v2, s0
	;; [unrolled: 2-line block ×3, first 2 shown]
	v_add_nc_u32_e32 v24, 0, v24
	v_add_co_u32 v8, s0, 0x800, v4
	v_add_co_ci_u32_e64 v9, s0, 0, v5, s0
	v_add_co_u32 v12, s0, 0x1000, v4
	v_add_co_ci_u32_e64 v13, s0, 0, v5, s0
	;; [unrolled: 2-line block ×3, first 2 shown]
	s_clause 0x5
	global_load_dwordx4 v[0:3], v[4:5], off
	global_load_dwordx4 v[4:7], v[4:5], off offset:1584
	global_load_dwordx4 v[8:11], v[8:9], off offset:1120
	;; [unrolled: 1-line block ×5, first 2 shown]
	s_waitcnt vmcnt(5)
	ds_write_b128 v24, v[0:3]
	s_waitcnt vmcnt(4)
	ds_write_b128 v24, v[4:7] offset:1584
	s_waitcnt vmcnt(3)
	ds_write_b128 v24, v[8:11] offset:3168
	;; [unrolled: 2-line block ×5, first 2 shown]
.LBB0_13:
	s_or_b32 exec_lo, exec_lo, s1
	v_lshl_add_u32 v61, v48, 4, 0
	s_waitcnt lgkmcnt(0)
	s_barrier
	buffer_gl0_inv
	s_mov_b32 s33, exec_lo
	ds_read_b128 v[4:7], v61
	ds_read_b128 v[28:31], v61 offset:864
	ds_read_b128 v[32:35], v61 offset:1728
	;; [unrolled: 1-line block ×10, first 2 shown]
	s_waitcnt lgkmcnt(0)
	s_barrier
	buffer_gl0_inv
	v_cmpx_gt_u32_e32 54, v48
	s_cbranch_execz .LBB0_15
; %bb.14:
	v_add_f64 v[51:52], v[4:5], v[28:29]
	v_add_f64 v[49:50], v[6:7], v[30:31]
	;; [unrolled: 1-line block ×3, first 2 shown]
	v_add_f64 v[68:69], v[30:31], -v[2:3]
	s_mov_b32 s0, 0x9bcd5057
	s_mov_b32 s6, 0xfd768dbf
	;; [unrolled: 1-line block ×8, first 2 shown]
	v_add_f64 v[53:54], v[38:39], v[26:27]
	v_add_f64 v[55:56], v[38:39], -v[26:27]
	v_add_f64 v[70:71], v[34:35], v[10:11]
	s_mov_b32 s4, 0x8764f0ba
	s_mov_b32 s14, 0xf8bb580b
	;; [unrolled: 1-line block ×7, first 2 shown]
	v_add_f64 v[51:52], v[51:52], v[32:33]
	v_add_f64 v[49:50], v[49:50], v[34:35]
	v_add_f64 v[34:35], v[34:35], -v[10:11]
	v_mul_f64 v[72:73], v[68:69], s[8:9]
	s_mov_b32 s19, 0x3fe14ced
	s_mov_b32 s21, 0x3fe82f19
	;; [unrolled: 1-line block ×9, first 2 shown]
	v_add_f64 v[59:60], v[42:43], v[22:23]
	v_add_f64 v[57:58], v[40:41], -v[20:21]
	v_add_f64 v[30:31], v[40:41], v[20:21]
	v_mul_f64 v[74:75], v[70:71], s[4:5]
	v_mul_f64 v[82:83], v[66:67], s[24:25]
	v_add_f64 v[84:85], v[14:15], v[18:19]
	v_mul_f64 v[86:87], v[68:69], s[26:27]
	v_mul_f64 v[90:91], v[70:71], s[24:25]
	v_add_f64 v[88:89], v[12:13], -v[16:17]
	v_add_f64 v[51:52], v[51:52], v[12:13]
	v_add_f64 v[49:50], v[49:50], v[14:15]
	v_mul_f64 v[78:79], v[34:35], s[18:19]
	v_add_f64 v[14:15], v[14:15], -v[18:19]
	v_mul_f64 v[98:99], v[34:35], s[6:7]
	v_add_f64 v[12:13], v[12:13], v[16:17]
	s_mov_b32 s30, 0xd9c712b6
	s_mov_b32 s36, 0x8eee2c13
	;; [unrolled: 1-line block ×6, first 2 shown]
	v_mul_f64 v[106:107], v[84:85], s[16:17]
	v_add_f64 v[64:65], v[51:52], v[40:41]
	v_add_f64 v[62:63], v[49:50], v[42:43]
	v_add_f64 v[51:52], v[36:37], -v[24:25]
	v_add_f64 v[49:50], v[36:37], v[24:25]
	v_add_f64 v[40:41], v[42:43], -v[22:23]
	v_add_f64 v[42:43], v[32:33], -v[8:9]
	v_add_f64 v[32:33], v[32:33], v[8:9]
	v_mul_f64 v[108:109], v[14:15], s[22:23]
	v_add_f64 v[36:37], v[64:65], v[36:37]
	v_add_f64 v[38:39], v[62:63], v[38:39]
	v_add_f64 v[62:63], v[28:29], -v[0:1]
	v_mul_f64 v[64:65], v[66:67], s[0:1]
	v_add_f64 v[28:29], v[28:29], v[0:1]
	v_fma_f64 v[96:97], v[42:43], s[14:15], v[74:75]
	v_fma_f64 v[100:101], v[32:33], s[4:5], v[78:79]
	;; [unrolled: 1-line block ×3, first 2 shown]
	v_fma_f64 v[78:79], v[32:33], s[4:5], -v[78:79]
	v_add_f64 v[24:25], v[36:37], v[24:25]
	v_mul_f64 v[36:37], v[66:67], s[16:17]
	v_add_f64 v[26:27], v[38:39], v[26:27]
	v_mul_f64 v[38:39], v[68:69], s[22:23]
	v_fma_f64 v[76:77], v[62:63], s[6:7], v[64:65]
	v_fma_f64 v[80:81], v[28:29], s[0:1], v[72:73]
	;; [unrolled: 1-line block ×3, first 2 shown]
	v_fma_f64 v[72:73], v[28:29], s[0:1], -v[72:73]
	v_fma_f64 v[102:103], v[62:63], s[26:27], v[82:83]
	v_fma_f64 v[104:105], v[28:29], s[24:25], -v[86:87]
	v_fma_f64 v[86:87], v[28:29], s[24:25], v[86:87]
	v_add_f64 v[20:21], v[24:25], v[20:21]
	v_fma_f64 v[92:93], v[62:63], s[20:21], v[36:37]
	v_add_f64 v[22:23], v[26:27], v[22:23]
	v_mul_f64 v[24:25], v[34:35], s[28:29]
	v_mul_f64 v[26:27], v[70:71], s[0:1]
	v_fma_f64 v[94:95], v[28:29], s[16:17], v[38:39]
	v_fma_f64 v[36:37], v[62:63], s[22:23], v[36:37]
	v_add_f64 v[76:77], v[6:7], v[76:77]
	v_fma_f64 v[38:39], v[28:29], s[16:17], -v[38:39]
	v_add_f64 v[80:81], v[4:5], v[80:81]
	v_add_f64 v[64:65], v[6:7], v[64:65]
	;; [unrolled: 1-line block ×7, first 2 shown]
	v_fma_f64 v[20:21], v[42:43], s[26:27], v[90:91]
	v_add_f64 v[92:93], v[6:7], v[92:93]
	v_add_f64 v[18:19], v[22:23], v[18:19]
	v_fma_f64 v[22:23], v[32:33], s[24:25], v[24:25]
	v_fma_f64 v[90:91], v[42:43], s[28:29], v[90:91]
	v_add_f64 v[94:95], v[4:5], v[94:95]
	v_add_f64 v[36:37], v[6:7], v[36:37]
	;; [unrolled: 1-line block ×3, first 2 shown]
	v_mul_f64 v[96:97], v[84:85], s[4:5]
	v_fma_f64 v[24:25], v[32:33], s[24:25], -v[24:25]
	v_add_f64 v[38:39], v[4:5], v[38:39]
	v_add_f64 v[80:81], v[100:101], v[80:81]
	v_fma_f64 v[100:101], v[42:43], s[6:7], v[26:27]
	v_add_f64 v[64:65], v[74:75], v[64:65]
	v_fma_f64 v[74:75], v[32:33], s[0:1], -v[98:99]
	v_add_f64 v[72:73], v[78:79], v[72:73]
	v_mul_f64 v[78:79], v[14:15], s[14:15]
	v_fma_f64 v[98:99], v[32:33], s[0:1], v[98:99]
	v_fma_f64 v[26:27], v[42:43], s[8:9], v[26:27]
	v_add_f64 v[8:9], v[16:17], v[8:9]
	v_add_f64 v[20:21], v[20:21], v[92:93]
	v_fma_f64 v[92:93], v[88:89], s[20:21], v[106:107]
	v_fma_f64 v[106:107], v[88:89], s[22:23], v[106:107]
	v_add_f64 v[10:11], v[18:19], v[10:11]
	v_add_f64 v[22:23], v[22:23], v[94:95]
	v_fma_f64 v[94:95], v[12:13], s[16:17], v[108:109]
	v_add_f64 v[36:37], v[90:91], v[36:37]
	v_mul_f64 v[90:91], v[59:60], s[30:31]
	v_fma_f64 v[108:109], v[12:13], s[16:17], -v[108:109]
	v_add_f64 v[24:25], v[24:25], v[38:39]
	v_mul_f64 v[38:39], v[40:41], s[34:35]
	v_add_f64 v[100:101], v[100:101], v[102:103]
	v_fma_f64 v[102:103], v[88:89], s[18:19], v[96:97]
	v_add_f64 v[74:75], v[74:75], v[104:105]
	v_fma_f64 v[96:97], v[88:89], s[14:15], v[96:97]
	v_fma_f64 v[104:105], v[12:13], s[4:5], v[78:79]
	v_fma_f64 v[78:79], v[12:13], s[4:5], -v[78:79]
	v_fma_f64 v[18:19], v[62:63], s[28:29], v[82:83]
	v_add_f64 v[86:87], v[98:99], v[86:87]
	v_add_f64 v[0:1], v[8:9], v[0:1]
	;; [unrolled: 1-line block ×3, first 2 shown]
	v_mul_f64 v[92:93], v[59:60], s[0:1]
	v_add_f64 v[64:65], v[106:107], v[64:65]
	v_add_f64 v[2:3], v[10:11], v[2:3]
	;; [unrolled: 1-line block ×3, first 2 shown]
	v_mul_f64 v[94:95], v[84:85], s[30:31]
	v_fma_f64 v[106:107], v[57:58], s[36:37], v[90:91]
	v_add_f64 v[72:73], v[108:109], v[72:73]
	v_fma_f64 v[90:91], v[57:58], s[34:35], v[90:91]
	v_fma_f64 v[108:109], v[30:31], s[30:31], v[38:39]
	v_fma_f64 v[38:39], v[30:31], s[30:31], -v[38:39]
	v_add_f64 v[20:21], v[102:103], v[20:21]
	v_mul_f64 v[102:103], v[14:15], s[34:35]
	v_add_f64 v[36:37], v[96:97], v[36:37]
	v_add_f64 v[22:23], v[104:105], v[22:23]
	v_mul_f64 v[104:105], v[40:41], s[8:9]
	v_add_f64 v[24:25], v[78:79], v[24:25]
	v_mul_f64 v[78:79], v[59:60], s[4:5]
	v_add_f64 v[18:19], v[6:7], v[18:19]
	v_fma_f64 v[96:97], v[57:58], s[6:7], v[92:93]
	v_fma_f64 v[92:93], v[57:58], s[8:9], v[92:93]
	v_add_f64 v[76:77], v[106:107], v[76:77]
	v_fma_f64 v[106:107], v[88:89], s[34:35], v[94:95]
	v_add_f64 v[64:65], v[90:91], v[64:65]
	v_add_f64 v[80:81], v[108:109], v[80:81]
	v_mul_f64 v[90:91], v[40:41], s[14:15]
	v_add_f64 v[38:39], v[38:39], v[72:73]
	v_fma_f64 v[108:109], v[12:13], s[30:31], -v[102:103]
	v_fma_f64 v[102:103], v[12:13], s[30:31], v[102:103]
	v_fma_f64 v[94:95], v[88:89], s[36:37], v[94:95]
	;; [unrolled: 1-line block ×3, first 2 shown]
	v_fma_f64 v[104:105], v[30:31], s[0:1], -v[104:105]
	v_add_f64 v[18:19], v[26:27], v[18:19]
	v_add_f64 v[20:21], v[96:97], v[20:21]
	v_mul_f64 v[96:97], v[66:67], s[30:31]
	v_mul_f64 v[66:67], v[66:67], s[4:5]
	v_add_f64 v[36:37], v[92:93], v[36:37]
	v_add_f64 v[100:101], v[106:107], v[100:101]
	v_fma_f64 v[106:107], v[57:58], s[14:15], v[78:79]
	v_fma_f64 v[78:79], v[57:58], s[18:19], v[78:79]
	v_add_f64 v[74:75], v[108:109], v[74:75]
	v_fma_f64 v[108:109], v[30:31], s[4:5], -v[90:91]
	v_add_f64 v[86:87], v[102:103], v[86:87]
	v_add_f64 v[22:23], v[72:73], v[22:23]
	v_mul_f64 v[72:73], v[68:69], s[36:37]
	v_add_f64 v[92:93], v[104:105], v[24:25]
	v_mul_f64 v[24:25], v[68:69], s[14:15]
	v_mul_f64 v[104:105], v[70:71], s[16:17]
	;; [unrolled: 1-line block ×3, first 2 shown]
	v_fma_f64 v[90:91], v[30:31], s[4:5], v[90:91]
	v_add_f64 v[18:19], v[94:95], v[18:19]
	v_fma_f64 v[68:69], v[62:63], s[36:37], v[96:97]
	v_fma_f64 v[82:83], v[62:63], s[34:35], v[96:97]
	;; [unrolled: 1-line block ×4, first 2 shown]
	v_add_f64 v[100:101], v[106:107], v[100:101]
	v_add_f64 v[74:75], v[108:109], v[74:75]
	v_mul_f64 v[108:109], v[84:85], s[0:1]
	v_mul_f64 v[84:85], v[84:85], s[24:25]
	v_fma_f64 v[16:17], v[28:29], s[30:31], -v[72:73]
	v_fma_f64 v[72:73], v[28:29], s[30:31], v[72:73]
	v_fma_f64 v[66:67], v[28:29], s[4:5], v[24:25]
	;; [unrolled: 1-line block ×3, first 2 shown]
	v_fma_f64 v[24:25], v[28:29], s[4:5], -v[24:25]
	v_mul_f64 v[28:29], v[34:35], s[22:23]
	v_mul_f64 v[34:35], v[34:35], s[36:37]
	v_fma_f64 v[104:105], v[42:43], s[20:21], v[104:105]
	v_add_f64 v[68:69], v[6:7], v[68:69]
	v_add_f64 v[82:83], v[6:7], v[82:83]
	;; [unrolled: 1-line block ×6, first 2 shown]
	v_fma_f64 v[98:99], v[88:89], s[26:27], v[84:85]
	v_add_f64 v[16:17], v[4:5], v[16:17]
	v_add_f64 v[72:73], v[4:5], v[72:73]
	;; [unrolled: 1-line block ×4, first 2 shown]
	v_fma_f64 v[24:25], v[32:33], s[16:17], -v[28:29]
	v_fma_f64 v[28:29], v[32:33], s[16:17], v[28:29]
	v_add_f64 v[62:63], v[106:107], v[68:69]
	v_fma_f64 v[68:69], v[88:89], s[6:7], v[108:109]
	v_fma_f64 v[106:107], v[42:43], s[36:37], v[70:71]
	;; [unrolled: 1-line block ×3, first 2 shown]
	v_add_f64 v[82:83], v[104:105], v[82:83]
	v_mul_f64 v[104:105], v[40:41], s[28:29]
	v_mul_f64 v[40:41], v[40:41], s[22:23]
	;; [unrolled: 1-line block ×3, first 2 shown]
	v_add_f64 v[16:17], v[24:25], v[16:17]
	v_fma_f64 v[24:25], v[32:33], s[30:31], -v[34:35]
	v_fma_f64 v[32:33], v[32:33], s[30:31], v[34:35]
	v_add_f64 v[28:29], v[28:29], v[72:73]
	v_add_f64 v[62:63], v[68:69], v[62:63]
	v_mul_f64 v[68:69], v[59:60], s[24:25]
	v_add_f64 v[6:7], v[106:107], v[6:7]
	v_mul_f64 v[106:107], v[14:15], s[6:7]
	v_mul_f64 v[14:15], v[14:15], s[26:27]
	v_fma_f64 v[72:73], v[88:89], s[8:9], v[108:109]
	v_mul_f64 v[59:60], v[59:60], s[16:17]
	v_add_f64 v[42:43], v[42:43], v[96:97]
	v_mul_f64 v[96:97], v[53:54], s[4:5]
	v_fma_f64 v[94:95], v[30:31], s[24:25], -v[104:105]
	v_add_f64 v[4:5], v[24:25], v[4:5]
	v_add_f64 v[32:33], v[32:33], v[66:67]
	v_mul_f64 v[66:67], v[55:56], s[22:23]
	v_fma_f64 v[24:25], v[57:58], s[28:29], v[68:69]
	v_add_f64 v[6:7], v[98:99], v[6:7]
	v_fma_f64 v[26:27], v[12:13], s[0:1], -v[106:107]
	v_fma_f64 v[34:35], v[12:13], s[24:25], -v[14:15]
	v_fma_f64 v[106:107], v[12:13], s[0:1], v[106:107]
	v_fma_f64 v[12:13], v[12:13], s[24:25], v[14:15]
	v_mul_f64 v[14:15], v[53:54], s[16:17]
	v_add_f64 v[72:73], v[72:73], v[82:83]
	v_fma_f64 v[82:83], v[57:58], s[22:23], v[59:60]
	v_fma_f64 v[98:99], v[30:31], s[16:17], -v[40:41]
	v_fma_f64 v[68:69], v[57:58], s[26:27], v[68:69]
	v_fma_f64 v[57:58], v[57:58], s[20:21], v[59:60]
	v_mul_f64 v[59:60], v[55:56], s[18:19]
	v_add_f64 v[24:25], v[24:25], v[62:63]
	v_fma_f64 v[62:63], v[88:89], s[28:29], v[84:85]
	v_mul_f64 v[84:85], v[55:56], s[26:27]
	v_mul_f64 v[88:89], v[53:54], s[30:31]
	v_add_f64 v[4:5], v[34:35], v[4:5]
	v_mul_f64 v[34:35], v[55:56], s[34:35]
	v_mul_f64 v[53:54], v[53:54], s[0:1]
	v_mul_f64 v[55:56], v[55:56], s[8:9]
	v_add_f64 v[16:17], v[26:27], v[16:17]
	v_add_f64 v[28:29], v[106:107], v[28:29]
	;; [unrolled: 1-line block ×5, first 2 shown]
	v_fma_f64 v[26:27], v[51:52], s[28:29], v[70:71]
	v_fma_f64 v[106:107], v[51:52], s[18:19], v[96:97]
	v_fma_f64 v[108:109], v[49:50], s[4:5], -v[59:60]
	v_fma_f64 v[70:71], v[51:52], s[26:27], v[70:71]
	v_fma_f64 v[110:111], v[51:52], s[20:21], v[14:15]
	;; [unrolled: 1-line block ×3, first 2 shown]
	v_add_f64 v[42:43], v[62:63], v[42:43]
	v_fma_f64 v[62:63], v[30:31], s[24:25], v[104:105]
	v_fma_f64 v[30:31], v[30:31], s[16:17], v[40:41]
	v_add_f64 v[98:99], v[98:99], v[4:5]
	v_fma_f64 v[40:41], v[51:52], s[36:37], v[88:89]
	v_fma_f64 v[90:91], v[51:52], s[8:9], v[53:54]
	v_fma_f64 v[72:73], v[49:50], s[0:1], -v[55:56]
	v_add_f64 v[16:17], v[94:95], v[16:17]
	v_fma_f64 v[32:33], v[49:50], s[30:31], v[34:35]
	v_fma_f64 v[94:95], v[51:52], s[22:23], v[14:15]
	v_fma_f64 v[104:105], v[49:50], s[16:17], -v[66:67]
	v_fma_f64 v[88:89], v[51:52], s[34:35], v[88:89]
	v_fma_f64 v[34:35], v[49:50], s[30:31], -v[34:35]
	;; [unrolled: 2-line block ×3, first 2 shown]
	v_fma_f64 v[51:52], v[51:52], s[6:7], v[53:54]
	v_fma_f64 v[53:54], v[49:50], s[16:17], v[66:67]
	v_add_f64 v[6:7], v[26:27], v[76:77]
	v_add_f64 v[26:27], v[106:107], v[24:25]
	;; [unrolled: 1-line block ×5, first 2 shown]
	v_fma_f64 v[57:58], v[49:50], s[4:5], v[59:60]
	v_fma_f64 v[49:50], v[49:50], s[0:1], v[55:56]
	v_add_f64 v[55:56], v[30:31], v[12:13]
	v_add_f64 v[30:31], v[90:91], v[82:83]
	;; [unrolled: 1-line block ×18, first 2 shown]
	v_mad_u32_u24 v49, 0xa0, v48, v61
	ds_write_b128 v49, v[0:3]
	ds_write_b128 v49, v[28:31] offset:16
	ds_write_b128 v49, v[24:27] offset:32
	;; [unrolled: 1-line block ×10, first 2 shown]
.LBB0_15:
	s_or_b32 exec_lo, exec_lo, s33
	v_add_nc_u32_e32 v0, 0x63, v48
	v_and_b32_e32 v41, 0xff, v48
	v_mov_b32_e32 v50, 5
	s_load_dwordx2 s[2:3], s[2:3], 0x0
	s_waitcnt lgkmcnt(0)
	v_and_b32_e32 v1, 0xff, v0
	v_mul_lo_u16 v2, 0x75, v41
	s_barrier
	buffer_gl0_inv
	v_mul_lo_u16 v53, 0xf9, v41
	v_mul_lo_u16 v1, 0x75, v1
	v_lshrrev_b16 v2, 8, v2
	s_mov_b32 s4, 0xe8584caa
	s_mov_b32 s5, 0x3febb67a
	v_lshrrev_b16 v53, 13, v53
	v_lshrrev_b16 v1, 8, v1
	v_sub_nc_u16 v3, v48, v2
	s_mov_b32 s7, 0xbfebb67a
	s_mov_b32 s6, s4
	v_mov_b32_e32 v55, 4
	v_sub_nc_u16 v4, v0, v1
	v_lshrrev_b16 v3, 1, v3
	s_add_u32 s1, s12, 0x2470
	v_lshrrev_b16 v4, 1, v4
	v_and_b32_e32 v3, 0x7f, v3
	v_and_b32_e32 v4, 0x7f, v4
	v_add_nc_u16 v2, v3, v2
	v_add_nc_u16 v1, v4, v1
	v_lshrrev_b16 v43, 3, v2
	v_lshrrev_b16 v49, 3, v1
	v_mul_lo_u16 v1, v43, 11
	v_mul_lo_u16 v2, v49, 11
	v_sub_nc_u16 v51, v48, v1
	v_sub_nc_u16 v52, v0, v2
	v_lshlrev_b32_sdwa v5, v50, v51 dst_sel:DWORD dst_unused:UNUSED_PAD src0_sel:DWORD src1_sel:BYTE_0
	v_lshlrev_b32_sdwa v13, v50, v52 dst_sel:DWORD dst_unused:UNUSED_PAD src0_sel:DWORD src1_sel:BYTE_0
	s_clause 0x3
	global_load_dwordx4 v[1:4], v5, s[12:13]
	global_load_dwordx4 v[5:8], v5, s[12:13] offset:16
	global_load_dwordx4 v[9:12], v13, s[12:13]
	global_load_dwordx4 v[13:16], v13, s[12:13] offset:16
	ds_read_b128 v[17:20], v61 offset:3168
	ds_read_b128 v[21:24], v61 offset:6336
	;; [unrolled: 1-line block ×4, first 2 shown]
	s_waitcnt vmcnt(3) lgkmcnt(3)
	v_mul_f64 v[33:34], v[19:20], v[3:4]
	s_waitcnt vmcnt(2) lgkmcnt(2)
	v_mul_f64 v[35:36], v[23:24], v[7:8]
	v_mul_f64 v[3:4], v[17:18], v[3:4]
	v_mul_f64 v[7:8], v[21:22], v[7:8]
	s_waitcnt vmcnt(1) lgkmcnt(1)
	v_mul_f64 v[37:38], v[27:28], v[11:12]
	s_waitcnt vmcnt(0) lgkmcnt(0)
	v_mul_f64 v[39:40], v[31:32], v[15:16]
	v_mul_f64 v[11:12], v[25:26], v[11:12]
	;; [unrolled: 1-line block ×3, first 2 shown]
	v_fma_f64 v[17:18], v[17:18], v[1:2], -v[33:34]
	v_fma_f64 v[21:22], v[21:22], v[5:6], -v[35:36]
	v_fma_f64 v[19:20], v[19:20], v[1:2], v[3:4]
	v_fma_f64 v[23:24], v[23:24], v[5:6], v[7:8]
	v_fma_f64 v[25:26], v[25:26], v[9:10], -v[37:38]
	v_fma_f64 v[29:30], v[29:30], v[13:14], -v[39:40]
	v_fma_f64 v[9:10], v[27:28], v[9:10], v[11:12]
	v_fma_f64 v[11:12], v[31:32], v[13:14], v[15:16]
	ds_read_b128 v[1:4], v61
	ds_read_b128 v[5:8], v61 offset:1584
	s_waitcnt lgkmcnt(0)
	s_barrier
	buffer_gl0_inv
	v_add_f64 v[13:14], v[17:18], v[21:22]
	v_add_f64 v[15:16], v[19:20], v[23:24]
	v_add_f64 v[35:36], v[19:20], -v[23:24]
	v_add_f64 v[27:28], v[25:26], v[29:30]
	v_add_f64 v[33:34], v[1:2], v[17:18]
	;; [unrolled: 1-line block ×5, first 2 shown]
	v_add_f64 v[17:18], v[17:18], -v[21:22]
	v_add_f64 v[37:38], v[5:6], v[25:26]
	v_add_f64 v[41:42], v[9:10], -v[11:12]
	v_add_f64 v[25:26], v[25:26], -v[29:30]
	v_fma_f64 v[13:14], v[13:14], -0.5, v[1:2]
	v_mul_lo_u16 v1, v53, 33
	v_fma_f64 v[15:16], v[15:16], -0.5, v[3:4]
	v_fma_f64 v[27:28], v[27:28], -0.5, v[5:6]
	;; [unrolled: 1-line block ×3, first 2 shown]
	v_sub_nc_u16 v54, v48, v1
	v_add_f64 v[1:2], v[33:34], v[21:22]
	v_add_f64 v[3:4], v[19:20], v[23:24]
	;; [unrolled: 1-line block ×4, first 2 shown]
	v_lshlrev_b32_sdwa v29, v55, v52 dst_sel:DWORD dst_unused:UNUSED_PAD src0_sel:DWORD src1_sel:BYTE_0
	v_fma_f64 v[9:10], v[35:36], s[4:5], v[13:14]
	v_fma_f64 v[13:14], v[35:36], s[6:7], v[13:14]
	;; [unrolled: 1-line block ×8, first 2 shown]
	v_mov_b32_e32 v25, 0x210
	v_mul_u32_u24_sdwa v26, v54, v50 dst_sel:DWORD dst_unused:UNUSED_PAD src0_sel:BYTE_0 src1_sel:DWORD
	v_lshlrev_b32_sdwa v28, v55, v51 dst_sel:DWORD dst_unused:UNUSED_PAD src0_sel:DWORD src1_sel:BYTE_0
	v_mul_u32_u24_sdwa v27, v43, v25 dst_sel:DWORD dst_unused:UNUSED_PAD src0_sel:WORD_0 src1_sel:DWORD
	v_mul_u32_u24_sdwa v25, v49, v25 dst_sel:DWORD dst_unused:UNUSED_PAD src0_sel:WORD_0 src1_sel:DWORD
	v_lshlrev_b32_e32 v26, 4, v26
	v_mov_b32_e32 v43, 0xc60
	v_add3_u32 v27, 0, v27, v28
	v_add3_u32 v25, 0, v25, v29
	ds_write_b128 v27, v[1:4]
	ds_write_b128 v27, v[9:12] offset:176
	ds_write_b128 v27, v[13:16] offset:352
	ds_write_b128 v25, v[5:8]
	ds_write_b128 v25, v[17:20] offset:176
	ds_write_b128 v25, v[21:24] offset:352
	s_waitcnt lgkmcnt(0)
	s_barrier
	buffer_gl0_inv
	s_clause 0x4
	global_load_dwordx4 v[1:4], v26, s[12:13] offset:384
	global_load_dwordx4 v[5:8], v26, s[12:13] offset:416
	;; [unrolled: 1-line block ×5, first 2 shown]
	ds_read_b128 v[21:24], v61 offset:4752
	ds_read_b128 v[25:28], v61 offset:7920
	;; [unrolled: 1-line block ×5, first 2 shown]
	s_waitcnt vmcnt(4) lgkmcnt(4)
	v_mul_f64 v[41:42], v[23:24], v[3:4]
	v_mul_f64 v[3:4], v[21:22], v[3:4]
	s_waitcnt vmcnt(3) lgkmcnt(3)
	v_mul_f64 v[49:50], v[25:26], v[7:8]
	v_mul_f64 v[7:8], v[27:28], v[7:8]
	;; [unrolled: 3-line block ×3, first 2 shown]
	v_fma_f64 v[21:22], v[21:22], v[1:2], -v[41:42]
	v_fma_f64 v[23:24], v[23:24], v[1:2], v[3:4]
	v_fma_f64 v[27:28], v[27:28], v[5:6], v[49:50]
	v_fma_f64 v[5:6], v[25:26], v[5:6], -v[7:8]
	s_waitcnt vmcnt(1) lgkmcnt(1)
	v_mul_f64 v[1:2], v[35:36], v[15:16]
	v_mul_f64 v[3:4], v[33:34], v[15:16]
	s_waitcnt vmcnt(0) lgkmcnt(0)
	v_mul_f64 v[7:8], v[39:40], v[19:20]
	v_mul_f64 v[15:16], v[37:38], v[19:20]
	v_fma_f64 v[19:20], v[29:30], v[9:10], -v[51:52]
	v_fma_f64 v[9:10], v[31:32], v[9:10], v[11:12]
	v_add_f64 v[11:12], v[23:24], v[27:28]
	v_add_f64 v[25:26], v[21:22], v[5:6]
	v_fma_f64 v[29:30], v[33:34], v[13:14], -v[1:2]
	v_fma_f64 v[13:14], v[35:36], v[13:14], v[3:4]
	v_fma_f64 v[7:8], v[37:38], v[17:18], -v[7:8]
	v_fma_f64 v[15:16], v[39:40], v[17:18], v[15:16]
	v_add_f64 v[17:18], v[23:24], -v[27:28]
	v_add_f64 v[31:32], v[21:22], -v[5:6]
	ds_read_b128 v[1:4], v61
	s_waitcnt lgkmcnt(0)
	s_barrier
	buffer_gl0_inv
	v_fma_f64 v[11:12], v[11:12], -0.5, v[9:10]
	v_fma_f64 v[25:26], v[25:26], -0.5, v[19:20]
	v_add_f64 v[19:20], v[19:20], v[21:22]
	v_add_f64 v[9:10], v[9:10], v[23:24]
	;; [unrolled: 1-line block ×4, first 2 shown]
	v_add_f64 v[21:22], v[29:30], -v[7:8]
	v_fma_f64 v[37:38], v[31:32], s[6:7], v[11:12]
	v_fma_f64 v[39:40], v[17:18], s[6:7], v[25:26]
	;; [unrolled: 1-line block ×4, first 2 shown]
	v_add_f64 v[25:26], v[1:2], v[29:30]
	v_add_f64 v[31:32], v[13:14], -v[15:16]
	v_add_f64 v[13:14], v[3:4], v[13:14]
	v_fma_f64 v[1:2], v[33:34], -0.5, v[1:2]
	v_fma_f64 v[23:24], v[35:36], -0.5, v[3:4]
	v_add_f64 v[5:6], v[19:20], v[5:6]
	v_add_f64 v[9:10], v[9:10], v[27:28]
	v_lshlrev_b32_e32 v3, 1, v48
	v_mov_b32_e32 v4, 0
	v_lshlrev_b64 v[49:50], 4, v[3:4]
	v_lshlrev_b32_e32 v3, 1, v0
	v_mul_f64 v[29:30], v[37:38], s[4:5]
	v_mul_f64 v[33:34], v[39:40], -0.5
	v_mul_f64 v[35:36], v[17:18], s[6:7]
	v_mul_f64 v[41:42], v[11:12], -0.5
	v_add_f64 v[7:8], v[25:26], v[7:8]
	v_add_co_u32 v0, s0, s12, v49
	v_add_f64 v[13:14], v[13:14], v[15:16]
	v_fma_f64 v[19:20], v[31:32], s[4:5], v[1:2]
	v_fma_f64 v[27:28], v[21:22], s[6:7], v[23:24]
	;; [unrolled: 1-line block ×4, first 2 shown]
	v_add_co_ci_u32_e64 v1, s0, s13, v50, s0
	v_fma_f64 v[17:18], v[17:18], 0.5, v[29:30]
	v_fma_f64 v[21:22], v[11:12], s[4:5], v[33:34]
	v_fma_f64 v[29:30], v[37:38], 0.5, v[35:36]
	v_fma_f64 v[31:32], v[39:40], s[6:7], v[41:42]
	v_add_co_u32 v35, s0, 0xbb0, v0
	v_add_co_ci_u32_e64 v36, s0, 0, v1, s0
	v_add_co_u32 v37, s0, 0x800, v0
	v_lshlrev_b64 v[33:34], 4, v[3:4]
	v_add_co_ci_u32_e64 v38, s0, 0, v1, s0
	v_add_f64 v[0:1], v[7:8], v[5:6]
	v_add_f64 v[2:3], v[13:14], v[9:10]
	v_add_f64 v[5:6], v[7:8], -v[5:6]
	v_add_f64 v[7:8], v[13:14], -v[9:10]
	v_mul_u32_u24_sdwa v39, v53, v43 dst_sel:DWORD dst_unused:UNUSED_PAD src0_sel:WORD_0 src1_sel:DWORD
	v_add_f64 v[9:10], v[19:20], v[17:18]
	v_add_f64 v[13:14], v[25:26], v[21:22]
	;; [unrolled: 1-line block ×4, first 2 shown]
	v_add_f64 v[17:18], v[19:20], -v[17:18]
	v_add_f64 v[19:20], v[27:28], -v[29:30]
	v_add_f64 v[21:22], v[25:26], -v[21:22]
	v_add_f64 v[23:24], v[23:24], -v[31:32]
	v_add_co_u32 v27, s0, s12, v33
	v_add_co_ci_u32_e64 v28, s0, s13, v34, s0
	v_lshlrev_b32_sdwa v29, v55, v54 dst_sel:DWORD dst_unused:UNUSED_PAD src0_sel:DWORD src1_sel:BYTE_0
	v_add_co_u32 v25, s0, 0xbb0, v27
	v_add_co_ci_u32_e64 v26, s0, 0, v28, s0
	v_add3_u32 v29, 0, v39, v29
	v_add_co_u32 v27, s0, 0x800, v27
	v_add_co_ci_u32_e64 v28, s0, 0, v28, s0
	ds_write_b128 v29, v[0:3]
	ds_write_b128 v29, v[5:8] offset:1584
	ds_write_b128 v29, v[9:12] offset:528
	;; [unrolled: 1-line block ×5, first 2 shown]
	s_waitcnt lgkmcnt(0)
	s_barrier
	buffer_gl0_inv
	s_clause 0x3
	global_load_dwordx4 v[0:3], v[37:38], off offset:944
	global_load_dwordx4 v[5:8], v[35:36], off offset:16
	;; [unrolled: 1-line block ×4, first 2 shown]
	ds_read_b128 v[17:20], v61 offset:3168
	ds_read_b128 v[21:24], v61 offset:6336
	;; [unrolled: 1-line block ×4, first 2 shown]
	s_waitcnt vmcnt(3) lgkmcnt(3)
	v_mul_f64 v[33:34], v[19:20], v[2:3]
	s_waitcnt vmcnt(2) lgkmcnt(2)
	v_mul_f64 v[35:36], v[23:24], v[7:8]
	v_mul_f64 v[2:3], v[17:18], v[2:3]
	;; [unrolled: 1-line block ×3, first 2 shown]
	s_waitcnt vmcnt(1) lgkmcnt(1)
	v_mul_f64 v[37:38], v[27:28], v[11:12]
	s_waitcnt vmcnt(0) lgkmcnt(0)
	v_mul_f64 v[39:40], v[31:32], v[15:16]
	v_mul_f64 v[11:12], v[25:26], v[11:12]
	;; [unrolled: 1-line block ×3, first 2 shown]
	v_fma_f64 v[17:18], v[17:18], v[0:1], -v[33:34]
	v_fma_f64 v[21:22], v[21:22], v[5:6], -v[35:36]
	v_fma_f64 v[19:20], v[19:20], v[0:1], v[2:3]
	v_fma_f64 v[23:24], v[23:24], v[5:6], v[7:8]
	v_fma_f64 v[25:26], v[25:26], v[9:10], -v[37:38]
	v_fma_f64 v[29:30], v[29:30], v[13:14], -v[39:40]
	v_fma_f64 v[9:10], v[27:28], v[9:10], v[11:12]
	v_fma_f64 v[11:12], v[31:32], v[13:14], v[15:16]
	ds_read_b128 v[0:3], v61
	ds_read_b128 v[5:8], v61 offset:1584
	s_waitcnt lgkmcnt(0)
	s_barrier
	buffer_gl0_inv
	v_add_f64 v[13:14], v[17:18], v[21:22]
	v_add_f64 v[15:16], v[19:20], v[23:24]
	v_add_f64 v[35:36], v[19:20], -v[23:24]
	v_add_f64 v[27:28], v[25:26], v[29:30]
	v_add_f64 v[33:34], v[0:1], v[17:18]
	v_add_f64 v[31:32], v[9:10], v[11:12]
	v_add_f64 v[19:20], v[2:3], v[19:20]
	v_add_f64 v[37:38], v[5:6], v[25:26]
	v_add_f64 v[39:40], v[7:8], v[9:10]
	v_add_f64 v[17:18], v[17:18], -v[21:22]
	v_add_f64 v[41:42], v[9:10], -v[11:12]
	;; [unrolled: 1-line block ×3, first 2 shown]
	v_fma_f64 v[13:14], v[13:14], -0.5, v[0:1]
	v_fma_f64 v[15:16], v[15:16], -0.5, v[2:3]
	;; [unrolled: 1-line block ×3, first 2 shown]
	v_add_f64 v[0:1], v[33:34], v[21:22]
	v_fma_f64 v[31:32], v[31:32], -0.5, v[7:8]
	v_add_f64 v[2:3], v[19:20], v[23:24]
	v_add_f64 v[5:6], v[37:38], v[29:30]
	;; [unrolled: 1-line block ×3, first 2 shown]
	v_fma_f64 v[9:10], v[35:36], s[4:5], v[13:14]
	v_fma_f64 v[13:14], v[35:36], s[6:7], v[13:14]
	;; [unrolled: 1-line block ×8, first 2 shown]
	ds_write_b128 v61, v[0:3]
	ds_write_b128 v61, v[5:8] offset:1584
	ds_write_b128 v61, v[9:12] offset:3168
	;; [unrolled: 1-line block ×5, first 2 shown]
	s_waitcnt lgkmcnt(0)
	s_barrier
	buffer_gl0_inv
	ds_read_b128 v[0:3], v61
	v_lshlrev_b32_e32 v5, 4, v48
	s_addc_u32 s4, s13, 0
	s_mov_b32 s5, exec_lo
                                        ; implicit-def: $vgpr7_vgpr8
                                        ; implicit-def: $vgpr9_vgpr10
	v_sub_nc_u32_e32 v11, 0, v5
                                        ; implicit-def: $vgpr5_vgpr6
	v_cmpx_ne_u32_e32 0, v48
	s_xor_b32 s5, exec_lo, s5
	s_cbranch_execz .LBB0_17
; %bb.16:
	v_mov_b32_e32 v49, v4
	ds_read_b128 v[12:15], v11 offset:9504
	v_lshlrev_b64 v[4:5], 4, v[48:49]
	v_add_co_u32 v4, s0, s1, v4
	v_add_co_ci_u32_e64 v5, s0, s4, v5, s0
	global_load_dwordx4 v[7:10], v[4:5], off
	s_waitcnt lgkmcnt(0)
	v_add_f64 v[4:5], v[0:1], -v[12:13]
	v_add_f64 v[16:17], v[2:3], v[14:15]
	v_add_f64 v[2:3], v[2:3], -v[14:15]
	v_add_f64 v[0:1], v[0:1], v[12:13]
	v_mul_f64 v[4:5], v[4:5], 0.5
	v_mul_f64 v[14:15], v[16:17], 0.5
	;; [unrolled: 1-line block ×3, first 2 shown]
	s_waitcnt vmcnt(0)
	v_mul_f64 v[12:13], v[4:5], v[9:10]
	v_fma_f64 v[16:17], v[14:15], v[9:10], v[2:3]
	v_fma_f64 v[2:3], v[14:15], v[9:10], -v[2:3]
	v_fma_f64 v[9:10], v[0:1], 0.5, v[12:13]
	v_fma_f64 v[0:1], v[0:1], 0.5, -v[12:13]
	v_fma_f64 v[12:13], -v[7:8], v[4:5], v[16:17]
	v_fma_f64 v[2:3], -v[7:8], v[4:5], v[2:3]
	ds_write_b64 v61, v[12:13] offset:8
	ds_write_b64 v11, v[2:3] offset:9512
	v_fma_f64 v[5:6], v[14:15], v[7:8], v[9:10]
	v_mov_b32_e32 v9, v48
	v_fma_f64 v[7:8], -v[14:15], v[7:8], v[0:1]
	v_mov_b32_e32 v10, v49
                                        ; implicit-def: $vgpr0_vgpr1
.LBB0_17:
	s_andn2_saveexec_b32 s0, s5
	s_cbranch_execz .LBB0_19
; %bb.18:
	s_mov_b32 s6, 0
	v_mov_b32_e32 v14, 0
	s_mov_b32 s7, s6
	v_mov_b32_e32 v4, s6
	v_mov_b32_e32 v5, s7
	s_waitcnt lgkmcnt(0)
	v_add_f64 v[7:8], v[0:1], -v[2:3]
	v_mov_b32_e32 v9, 0
	v_mov_b32_e32 v10, 0
	ds_write_b64 v61, v[4:5] offset:8
	ds_write_b64 v11, v[4:5] offset:9512
	ds_read_b64 v[12:13], v14 offset:4760
	v_add_f64 v[5:6], v[0:1], v[2:3]
	s_waitcnt lgkmcnt(0)
	v_xor_b32_e32 v13, 0x80000000, v13
	ds_write_b64 v14, v[12:13] offset:4760
.LBB0_19:
	s_or_b32 exec_lo, exec_lo, s0
	s_waitcnt lgkmcnt(0)
	v_lshlrev_b64 v[0:1], 4, v[9:10]
	v_add_co_u32 v9, s0, s1, v0
	v_add_co_ci_u32_e64 v10, s0, s4, v1, s0
	global_load_dwordx4 v[0:3], v[9:10], off offset:1584
	v_add_co_u32 v9, s0, 0x800, v9
	v_add_co_ci_u32_e64 v10, s0, 0, v10, s0
	global_load_dwordx4 v[12:15], v[9:10], off offset:1120
	ds_write_b64 v61, v[5:6]
	ds_write_b64 v11, v[7:8] offset:9504
	ds_read_b128 v[4:7], v61 offset:1584
	ds_read_b128 v[16:19], v11 offset:7920
	s_waitcnt lgkmcnt(0)
	v_add_f64 v[8:9], v[4:5], -v[16:17]
	v_add_f64 v[20:21], v[6:7], v[18:19]
	v_add_f64 v[6:7], v[6:7], -v[18:19]
	v_add_f64 v[4:5], v[4:5], v[16:17]
	v_mul_f64 v[8:9], v[8:9], 0.5
	v_mul_f64 v[18:19], v[20:21], 0.5
	;; [unrolled: 1-line block ×3, first 2 shown]
	s_waitcnt vmcnt(1)
	v_mul_f64 v[16:17], v[8:9], v[2:3]
	v_fma_f64 v[20:21], v[18:19], v[2:3], v[6:7]
	v_fma_f64 v[2:3], v[18:19], v[2:3], -v[6:7]
	v_fma_f64 v[6:7], v[4:5], 0.5, v[16:17]
	v_fma_f64 v[4:5], v[4:5], 0.5, -v[16:17]
	v_fma_f64 v[16:17], -v[0:1], v[8:9], v[20:21]
	v_fma_f64 v[2:3], -v[0:1], v[8:9], v[2:3]
	v_fma_f64 v[6:7], v[18:19], v[0:1], v[6:7]
	v_fma_f64 v[0:1], -v[18:19], v[0:1], v[4:5]
	ds_write2_b64 v61, v[6:7], v[16:17] offset0:198 offset1:199
	ds_write_b128 v11, v[0:3] offset:7920
	ds_read_b128 v[0:3], v61 offset:3168
	ds_read_b128 v[4:7], v11 offset:6336
	s_waitcnt lgkmcnt(0)
	v_add_f64 v[8:9], v[0:1], -v[4:5]
	v_add_f64 v[16:17], v[2:3], v[6:7]
	v_add_f64 v[2:3], v[2:3], -v[6:7]
	v_add_f64 v[0:1], v[0:1], v[4:5]
	v_mul_f64 v[6:7], v[8:9], 0.5
	v_mul_f64 v[8:9], v[16:17], 0.5
	;; [unrolled: 1-line block ×3, first 2 shown]
	s_waitcnt vmcnt(0)
	v_mul_f64 v[4:5], v[6:7], v[14:15]
	v_fma_f64 v[16:17], v[8:9], v[14:15], v[2:3]
	v_fma_f64 v[2:3], v[8:9], v[14:15], -v[2:3]
	v_fma_f64 v[14:15], v[0:1], 0.5, v[4:5]
	v_fma_f64 v[0:1], v[0:1], 0.5, -v[4:5]
	v_fma_f64 v[4:5], -v[12:13], v[6:7], v[16:17]
	v_fma_f64 v[2:3], -v[12:13], v[6:7], v[2:3]
	v_fma_f64 v[6:7], v[8:9], v[12:13], v[14:15]
	v_fma_f64 v[0:1], -v[8:9], v[12:13], v[0:1]
	v_add_nc_u32_e32 v8, 0x800, v61
	ds_write2_b64 v8, v[6:7], v[4:5] offset0:140 offset1:141
	ds_write_b128 v11, v[0:3] offset:6336
	s_waitcnt lgkmcnt(0)
	s_barrier
	buffer_gl0_inv
	s_and_saveexec_b32 s0, vcc_lo
	s_cbranch_execz .LBB0_22
; %bb.20:
	v_mul_lo_u32 v2, s3, v46
	v_mul_lo_u32 v3, s2, v47
	v_mad_u64_u32 v[0:1], null, s2, v46, 0
	v_lshl_add_u32 v16, v48, 4, 0
	v_mov_b32_e32 v49, 0
	v_lshlrev_b64 v[10:11], 4, v[44:45]
	v_add_nc_u32_e32 v12, 0x63, v48
	v_add_nc_u32_e32 v24, 0x1ef, v48
	v_add3_u32 v1, v1, v3, v2
	ds_read_b128 v[2:5], v16
	ds_read_b128 v[6:9], v16 offset:1584
	v_mov_b32_e32 v13, v49
	v_lshlrev_b64 v[14:15], 4, v[48:49]
	v_mov_b32_e32 v25, v49
	v_lshlrev_b64 v[0:1], 4, v[0:1]
	v_lshlrev_b64 v[24:25], 4, v[24:25]
	v_add_co_u32 v0, vcc_lo, s10, v0
	v_add_co_ci_u32_e32 v1, vcc_lo, s11, v1, vcc_lo
	v_add_co_u32 v0, vcc_lo, v0, v10
	v_add_co_ci_u32_e32 v1, vcc_lo, v1, v11, vcc_lo
	v_lshlrev_b64 v[10:11], 4, v[12:13]
	v_add_co_u32 v12, vcc_lo, v0, v14
	v_add_co_ci_u32_e32 v13, vcc_lo, v1, v15, vcc_lo
	v_add_nc_u32_e32 v14, 0xc6, v48
	v_add_co_u32 v10, vcc_lo, v0, v10
	v_mov_b32_e32 v15, v49
	v_add_co_ci_u32_e32 v11, vcc_lo, v1, v11, vcc_lo
	s_waitcnt lgkmcnt(1)
	global_store_dwordx4 v[12:13], v[2:5], off
	s_waitcnt lgkmcnt(0)
	global_store_dwordx4 v[10:11], v[6:9], off
	v_lshlrev_b64 v[2:3], 4, v[14:15]
	v_add_nc_u32_e32 v10, 0x129, v48
	v_mov_b32_e32 v11, v49
	v_add_nc_u32_e32 v12, 0x18c, v48
	v_mov_b32_e32 v13, v49
	v_add_co_u32 v18, vcc_lo, v0, v2
	v_add_co_ci_u32_e32 v19, vcc_lo, v1, v3, vcc_lo
	ds_read_b128 v[2:5], v16 offset:3168
	ds_read_b128 v[6:9], v16 offset:4752
	v_lshlrev_b64 v[20:21], 4, v[10:11]
	v_lshlrev_b64 v[22:23], 4, v[12:13]
	ds_read_b128 v[10:13], v16 offset:6336
	ds_read_b128 v[14:17], v16 offset:7920
	v_add_co_u32 v20, vcc_lo, v0, v20
	v_add_co_ci_u32_e32 v21, vcc_lo, v1, v21, vcc_lo
	v_add_co_u32 v22, vcc_lo, v0, v22
	v_add_co_ci_u32_e32 v23, vcc_lo, v1, v23, vcc_lo
	;; [unrolled: 2-line block ×3, first 2 shown]
	v_cmp_eq_u32_e32 vcc_lo, 0x62, v48
	s_waitcnt lgkmcnt(3)
	global_store_dwordx4 v[18:19], v[2:5], off
	s_waitcnt lgkmcnt(2)
	global_store_dwordx4 v[20:21], v[6:9], off
	;; [unrolled: 2-line block ×4, first 2 shown]
	s_and_b32 exec_lo, exec_lo, vcc_lo
	s_cbranch_execz .LBB0_22
; %bb.21:
	ds_read_b128 v[2:5], v49 offset:9504
	v_add_co_u32 v0, vcc_lo, 0x2000, v0
	v_add_co_ci_u32_e32 v1, vcc_lo, 0, v1, vcc_lo
	s_waitcnt lgkmcnt(0)
	global_store_dwordx4 v[0:1], v[2:5], off offset:1312
.LBB0_22:
	s_endpgm
	.section	.rodata,"a",@progbits
	.p2align	6, 0x0
	.amdhsa_kernel fft_rtc_fwd_len594_factors_11_3_6_3_wgs_99_tpt_99_dp_op_CI_CI_unitstride_sbrr_R2C_dirReg
		.amdhsa_group_segment_fixed_size 0
		.amdhsa_private_segment_fixed_size 0
		.amdhsa_kernarg_size 104
		.amdhsa_user_sgpr_count 6
		.amdhsa_user_sgpr_private_segment_buffer 1
		.amdhsa_user_sgpr_dispatch_ptr 0
		.amdhsa_user_sgpr_queue_ptr 0
		.amdhsa_user_sgpr_kernarg_segment_ptr 1
		.amdhsa_user_sgpr_dispatch_id 0
		.amdhsa_user_sgpr_flat_scratch_init 0
		.amdhsa_user_sgpr_private_segment_size 0
		.amdhsa_wavefront_size32 1
		.amdhsa_uses_dynamic_stack 0
		.amdhsa_system_sgpr_private_segment_wavefront_offset 0
		.amdhsa_system_sgpr_workgroup_id_x 1
		.amdhsa_system_sgpr_workgroup_id_y 0
		.amdhsa_system_sgpr_workgroup_id_z 0
		.amdhsa_system_sgpr_workgroup_info 0
		.amdhsa_system_vgpr_workitem_id 0
		.amdhsa_next_free_vgpr 112
		.amdhsa_next_free_sgpr 38
		.amdhsa_reserve_vcc 1
		.amdhsa_reserve_flat_scratch 0
		.amdhsa_float_round_mode_32 0
		.amdhsa_float_round_mode_16_64 0
		.amdhsa_float_denorm_mode_32 3
		.amdhsa_float_denorm_mode_16_64 3
		.amdhsa_dx10_clamp 1
		.amdhsa_ieee_mode 1
		.amdhsa_fp16_overflow 0
		.amdhsa_workgroup_processor_mode 1
		.amdhsa_memory_ordered 1
		.amdhsa_forward_progress 0
		.amdhsa_shared_vgpr_count 0
		.amdhsa_exception_fp_ieee_invalid_op 0
		.amdhsa_exception_fp_denorm_src 0
		.amdhsa_exception_fp_ieee_div_zero 0
		.amdhsa_exception_fp_ieee_overflow 0
		.amdhsa_exception_fp_ieee_underflow 0
		.amdhsa_exception_fp_ieee_inexact 0
		.amdhsa_exception_int_div_zero 0
	.end_amdhsa_kernel
	.text
.Lfunc_end0:
	.size	fft_rtc_fwd_len594_factors_11_3_6_3_wgs_99_tpt_99_dp_op_CI_CI_unitstride_sbrr_R2C_dirReg, .Lfunc_end0-fft_rtc_fwd_len594_factors_11_3_6_3_wgs_99_tpt_99_dp_op_CI_CI_unitstride_sbrr_R2C_dirReg
                                        ; -- End function
	.section	.AMDGPU.csdata,"",@progbits
; Kernel info:
; codeLenInByte = 7864
; NumSgprs: 40
; NumVgprs: 112
; ScratchSize: 0
; MemoryBound: 0
; FloatMode: 240
; IeeeMode: 1
; LDSByteSize: 0 bytes/workgroup (compile time only)
; SGPRBlocks: 4
; VGPRBlocks: 13
; NumSGPRsForWavesPerEU: 40
; NumVGPRsForWavesPerEU: 112
; Occupancy: 9
; WaveLimiterHint : 1
; COMPUTE_PGM_RSRC2:SCRATCH_EN: 0
; COMPUTE_PGM_RSRC2:USER_SGPR: 6
; COMPUTE_PGM_RSRC2:TRAP_HANDLER: 0
; COMPUTE_PGM_RSRC2:TGID_X_EN: 1
; COMPUTE_PGM_RSRC2:TGID_Y_EN: 0
; COMPUTE_PGM_RSRC2:TGID_Z_EN: 0
; COMPUTE_PGM_RSRC2:TIDIG_COMP_CNT: 0
	.text
	.p2alignl 6, 3214868480
	.fill 48, 4, 3214868480
	.type	__hip_cuid_3f69c95b0b5724a2,@object ; @__hip_cuid_3f69c95b0b5724a2
	.section	.bss,"aw",@nobits
	.globl	__hip_cuid_3f69c95b0b5724a2
__hip_cuid_3f69c95b0b5724a2:
	.byte	0                               ; 0x0
	.size	__hip_cuid_3f69c95b0b5724a2, 1

	.ident	"AMD clang version 19.0.0git (https://github.com/RadeonOpenCompute/llvm-project roc-6.4.0 25133 c7fe45cf4b819c5991fe208aaa96edf142730f1d)"
	.section	".note.GNU-stack","",@progbits
	.addrsig
	.addrsig_sym __hip_cuid_3f69c95b0b5724a2
	.amdgpu_metadata
---
amdhsa.kernels:
  - .args:
      - .actual_access:  read_only
        .address_space:  global
        .offset:         0
        .size:           8
        .value_kind:     global_buffer
      - .offset:         8
        .size:           8
        .value_kind:     by_value
      - .actual_access:  read_only
        .address_space:  global
        .offset:         16
        .size:           8
        .value_kind:     global_buffer
      - .actual_access:  read_only
        .address_space:  global
        .offset:         24
        .size:           8
        .value_kind:     global_buffer
      - .actual_access:  read_only
        .address_space:  global
        .offset:         32
        .size:           8
        .value_kind:     global_buffer
      - .offset:         40
        .size:           8
        .value_kind:     by_value
      - .actual_access:  read_only
        .address_space:  global
        .offset:         48
        .size:           8
        .value_kind:     global_buffer
      - .actual_access:  read_only
        .address_space:  global
        .offset:         56
        .size:           8
        .value_kind:     global_buffer
      - .offset:         64
        .size:           4
        .value_kind:     by_value
      - .actual_access:  read_only
        .address_space:  global
        .offset:         72
        .size:           8
        .value_kind:     global_buffer
      - .actual_access:  read_only
        .address_space:  global
        .offset:         80
        .size:           8
        .value_kind:     global_buffer
      - .actual_access:  read_only
        .address_space:  global
        .offset:         88
        .size:           8
        .value_kind:     global_buffer
      - .actual_access:  write_only
        .address_space:  global
        .offset:         96
        .size:           8
        .value_kind:     global_buffer
    .group_segment_fixed_size: 0
    .kernarg_segment_align: 8
    .kernarg_segment_size: 104
    .language:       OpenCL C
    .language_version:
      - 2
      - 0
    .max_flat_workgroup_size: 99
    .name:           fft_rtc_fwd_len594_factors_11_3_6_3_wgs_99_tpt_99_dp_op_CI_CI_unitstride_sbrr_R2C_dirReg
    .private_segment_fixed_size: 0
    .sgpr_count:     40
    .sgpr_spill_count: 0
    .symbol:         fft_rtc_fwd_len594_factors_11_3_6_3_wgs_99_tpt_99_dp_op_CI_CI_unitstride_sbrr_R2C_dirReg.kd
    .uniform_work_group_size: 1
    .uses_dynamic_stack: false
    .vgpr_count:     112
    .vgpr_spill_count: 0
    .wavefront_size: 32
    .workgroup_processor_mode: 1
amdhsa.target:   amdgcn-amd-amdhsa--gfx1030
amdhsa.version:
  - 1
  - 2
...

	.end_amdgpu_metadata
